;; amdgpu-corpus repo=ROCm/rocFFT kind=compiled arch=gfx950 opt=O3
	.text
	.amdgcn_target "amdgcn-amd-amdhsa--gfx950"
	.amdhsa_code_object_version 6
	.protected	fft_rtc_fwd_len2592_factors_6_6_6_6_2_wgs_216_tpt_216_halfLds_sp_ip_CI_unitstride_sbrr_dirReg ; -- Begin function fft_rtc_fwd_len2592_factors_6_6_6_6_2_wgs_216_tpt_216_halfLds_sp_ip_CI_unitstride_sbrr_dirReg
	.globl	fft_rtc_fwd_len2592_factors_6_6_6_6_2_wgs_216_tpt_216_halfLds_sp_ip_CI_unitstride_sbrr_dirReg
	.p2align	8
	.type	fft_rtc_fwd_len2592_factors_6_6_6_6_2_wgs_216_tpt_216_halfLds_sp_ip_CI_unitstride_sbrr_dirReg,@function
fft_rtc_fwd_len2592_factors_6_6_6_6_2_wgs_216_tpt_216_halfLds_sp_ip_CI_unitstride_sbrr_dirReg: ; @fft_rtc_fwd_len2592_factors_6_6_6_6_2_wgs_216_tpt_216_halfLds_sp_ip_CI_unitstride_sbrr_dirReg
; %bb.0:
	s_load_dwordx2 s[8:9], s[0:1], 0x50
	s_load_dwordx4 s[4:7], s[0:1], 0x0
	s_load_dwordx2 s[10:11], s[0:1], 0x18
	v_mul_u32_u24_e32 v1, 0x130, v0
	v_add_u32_sdwa v6, s2, v1 dst_sel:DWORD dst_unused:UNUSED_PAD src0_sel:DWORD src1_sel:WORD_1
	v_mov_b32_e32 v4, 0
	s_waitcnt lgkmcnt(0)
	v_cmp_lt_u64_e64 s[2:3], s[6:7], 2
	v_mov_b32_e32 v7, v4
	s_and_b64 vcc, exec, s[2:3]
	v_mov_b64_e32 v[2:3], 0
	s_cbranch_vccnz .LBB0_8
; %bb.1:
	s_load_dwordx2 s[2:3], s[0:1], 0x10
	s_add_u32 s12, s10, 8
	s_addc_u32 s13, s11, 0
	s_mov_b64 s[14:15], 1
	v_mov_b64_e32 v[2:3], 0
	s_waitcnt lgkmcnt(0)
	s_add_u32 s16, s2, 8
	s_addc_u32 s17, s3, 0
.LBB0_2:                                ; =>This Inner Loop Header: Depth=1
	s_load_dwordx2 s[18:19], s[16:17], 0x0
                                        ; implicit-def: $vgpr8_vgpr9
	s_waitcnt lgkmcnt(0)
	v_or_b32_e32 v5, s19, v7
	v_cmp_ne_u64_e32 vcc, 0, v[4:5]
	s_and_saveexec_b64 s[2:3], vcc
	s_xor_b64 s[20:21], exec, s[2:3]
	s_cbranch_execz .LBB0_4
; %bb.3:                                ;   in Loop: Header=BB0_2 Depth=1
	v_cvt_f32_u32_e32 v1, s18
	v_cvt_f32_u32_e32 v5, s19
	s_sub_u32 s2, 0, s18
	s_subb_u32 s3, 0, s19
	v_fmac_f32_e32 v1, 0x4f800000, v5
	v_rcp_f32_e32 v1, v1
	s_nop 0
	v_mul_f32_e32 v1, 0x5f7ffffc, v1
	v_mul_f32_e32 v5, 0x2f800000, v1
	v_trunc_f32_e32 v5, v5
	v_fmac_f32_e32 v1, 0xcf800000, v5
	v_cvt_u32_f32_e32 v5, v5
	v_cvt_u32_f32_e32 v1, v1
	v_mul_lo_u32 v8, s2, v5
	v_mul_hi_u32 v10, s2, v1
	v_mul_lo_u32 v9, s3, v1
	v_add_u32_e32 v10, v10, v8
	v_mul_lo_u32 v12, s2, v1
	v_add_u32_e32 v13, v10, v9
	v_mul_hi_u32 v8, v1, v12
	v_mul_hi_u32 v11, v1, v13
	v_mul_lo_u32 v10, v1, v13
	v_mov_b32_e32 v9, v4
	v_lshl_add_u64 v[8:9], v[8:9], 0, v[10:11]
	v_mul_hi_u32 v11, v5, v12
	v_mul_lo_u32 v12, v5, v12
	v_add_co_u32_e32 v8, vcc, v8, v12
	v_mul_hi_u32 v10, v5, v13
	s_nop 0
	v_addc_co_u32_e32 v8, vcc, v9, v11, vcc
	v_mov_b32_e32 v9, v4
	s_nop 0
	v_addc_co_u32_e32 v11, vcc, 0, v10, vcc
	v_mul_lo_u32 v10, v5, v13
	v_lshl_add_u64 v[8:9], v[8:9], 0, v[10:11]
	v_add_co_u32_e32 v1, vcc, v1, v8
	v_mul_lo_u32 v10, s2, v1
	s_nop 0
	v_addc_co_u32_e32 v5, vcc, v5, v9, vcc
	v_mul_lo_u32 v8, s2, v5
	v_mul_hi_u32 v9, s2, v1
	v_add_u32_e32 v8, v9, v8
	v_mul_lo_u32 v9, s3, v1
	v_add_u32_e32 v12, v8, v9
	v_mul_hi_u32 v14, v5, v10
	v_mul_lo_u32 v15, v5, v10
	v_mul_hi_u32 v9, v1, v12
	v_mul_lo_u32 v8, v1, v12
	v_mul_hi_u32 v10, v1, v10
	v_mov_b32_e32 v11, v4
	v_lshl_add_u64 v[8:9], v[10:11], 0, v[8:9]
	v_add_co_u32_e32 v8, vcc, v8, v15
	v_mul_hi_u32 v13, v5, v12
	s_nop 0
	v_addc_co_u32_e32 v8, vcc, v9, v14, vcc
	v_mul_lo_u32 v10, v5, v12
	s_nop 0
	v_addc_co_u32_e32 v11, vcc, 0, v13, vcc
	v_mov_b32_e32 v9, v4
	v_lshl_add_u64 v[8:9], v[8:9], 0, v[10:11]
	v_add_co_u32_e32 v1, vcc, v1, v8
	v_mul_hi_u32 v10, v6, v1
	s_nop 0
	v_addc_co_u32_e32 v5, vcc, v5, v9, vcc
	v_mad_u64_u32 v[8:9], s[2:3], v6, v5, 0
	v_mov_b32_e32 v11, v4
	v_lshl_add_u64 v[8:9], v[10:11], 0, v[8:9]
	v_mad_u64_u32 v[12:13], s[2:3], v7, v1, 0
	v_add_co_u32_e32 v1, vcc, v8, v12
	v_mad_u64_u32 v[10:11], s[2:3], v7, v5, 0
	s_nop 0
	v_addc_co_u32_e32 v8, vcc, v9, v13, vcc
	v_mov_b32_e32 v9, v4
	s_nop 0
	v_addc_co_u32_e32 v11, vcc, 0, v11, vcc
	v_lshl_add_u64 v[8:9], v[8:9], 0, v[10:11]
	v_mul_lo_u32 v1, s19, v8
	v_mul_lo_u32 v5, s18, v9
	v_mad_u64_u32 v[10:11], s[2:3], s18, v8, 0
	v_add3_u32 v1, v11, v5, v1
	v_sub_u32_e32 v5, v7, v1
	v_mov_b32_e32 v11, s19
	v_sub_co_u32_e32 v14, vcc, v6, v10
	v_lshl_add_u64 v[12:13], v[8:9], 0, 1
	s_nop 0
	v_subb_co_u32_e64 v5, s[2:3], v5, v11, vcc
	v_subrev_co_u32_e64 v10, s[2:3], s18, v14
	v_subb_co_u32_e32 v1, vcc, v7, v1, vcc
	s_nop 0
	v_subbrev_co_u32_e64 v5, s[2:3], 0, v5, s[2:3]
	v_cmp_le_u32_e64 s[2:3], s19, v5
	v_cmp_le_u32_e32 vcc, s19, v1
	s_nop 0
	v_cndmask_b32_e64 v11, 0, -1, s[2:3]
	v_cmp_le_u32_e64 s[2:3], s18, v10
	s_nop 1
	v_cndmask_b32_e64 v10, 0, -1, s[2:3]
	v_cmp_eq_u32_e64 s[2:3], s19, v5
	s_nop 1
	v_cndmask_b32_e64 v5, v11, v10, s[2:3]
	v_lshl_add_u64 v[10:11], v[8:9], 0, 2
	v_cmp_ne_u32_e64 s[2:3], 0, v5
	s_nop 1
	v_cndmask_b32_e64 v5, v13, v11, s[2:3]
	v_cndmask_b32_e64 v11, 0, -1, vcc
	v_cmp_le_u32_e32 vcc, s18, v14
	s_nop 1
	v_cndmask_b32_e64 v13, 0, -1, vcc
	v_cmp_eq_u32_e32 vcc, s19, v1
	s_nop 1
	v_cndmask_b32_e32 v1, v11, v13, vcc
	v_cmp_ne_u32_e32 vcc, 0, v1
	v_cndmask_b32_e64 v1, v12, v10, s[2:3]
	s_nop 0
	v_cndmask_b32_e32 v9, v9, v5, vcc
	v_cndmask_b32_e32 v8, v8, v1, vcc
.LBB0_4:                                ;   in Loop: Header=BB0_2 Depth=1
	s_andn2_saveexec_b64 s[2:3], s[20:21]
	s_cbranch_execz .LBB0_6
; %bb.5:                                ;   in Loop: Header=BB0_2 Depth=1
	v_cvt_f32_u32_e32 v1, s18
	s_sub_i32 s20, 0, s18
	v_rcp_iflag_f32_e32 v1, v1
	s_nop 0
	v_mul_f32_e32 v1, 0x4f7ffffe, v1
	v_cvt_u32_f32_e32 v1, v1
	v_mul_lo_u32 v5, s20, v1
	v_mul_hi_u32 v5, v1, v5
	v_add_u32_e32 v1, v1, v5
	v_mul_hi_u32 v1, v6, v1
	v_mul_lo_u32 v5, v1, s18
	v_sub_u32_e32 v5, v6, v5
	v_add_u32_e32 v8, 1, v1
	v_subrev_u32_e32 v9, s18, v5
	v_cmp_le_u32_e32 vcc, s18, v5
	s_nop 1
	v_cndmask_b32_e32 v5, v5, v9, vcc
	v_cndmask_b32_e32 v1, v1, v8, vcc
	v_add_u32_e32 v8, 1, v1
	v_cmp_le_u32_e32 vcc, s18, v5
	v_mov_b32_e32 v9, v4
	s_nop 0
	v_cndmask_b32_e32 v8, v1, v8, vcc
.LBB0_6:                                ;   in Loop: Header=BB0_2 Depth=1
	s_or_b64 exec, exec, s[2:3]
	v_mad_u64_u32 v[10:11], s[2:3], v8, s18, 0
	s_load_dwordx2 s[2:3], s[12:13], 0x0
	v_mul_lo_u32 v1, v9, s18
	v_mul_lo_u32 v5, v8, s19
	v_add3_u32 v1, v11, v5, v1
	v_sub_co_u32_e32 v5, vcc, v6, v10
	s_add_u32 s14, s14, 1
	s_nop 0
	v_subb_co_u32_e32 v1, vcc, v7, v1, vcc
	s_addc_u32 s15, s15, 0
	s_waitcnt lgkmcnt(0)
	v_mul_lo_u32 v1, s2, v1
	v_mul_lo_u32 v6, s3, v5
	v_mad_u64_u32 v[2:3], s[2:3], s2, v5, v[2:3]
	s_add_u32 s12, s12, 8
	v_add3_u32 v3, v6, v3, v1
	s_addc_u32 s13, s13, 0
	v_mov_b64_e32 v[6:7], s[6:7]
	s_add_u32 s16, s16, 8
	v_cmp_ge_u64_e32 vcc, s[14:15], v[6:7]
	s_addc_u32 s17, s17, 0
	s_cbranch_vccnz .LBB0_9
; %bb.7:                                ;   in Loop: Header=BB0_2 Depth=1
	v_mov_b64_e32 v[6:7], v[8:9]
	s_branch .LBB0_2
.LBB0_8:
	v_mov_b64_e32 v[8:9], v[6:7]
.LBB0_9:
	s_lshl_b64 s[2:3], s[6:7], 3
	s_add_u32 s2, s10, s2
	s_addc_u32 s3, s11, s3
	s_load_dwordx2 s[6:7], s[2:3], 0x0
	s_load_dwordx2 s[10:11], s[0:1], 0x20
	s_mov_b32 s2, 0x12f684c
                                        ; implicit-def: $vgpr24
                                        ; implicit-def: $vgpr20
                                        ; implicit-def: $vgpr26
                                        ; implicit-def: $vgpr10
                                        ; implicit-def: $vgpr28
                                        ; implicit-def: $vgpr14
                                        ; implicit-def: $vgpr30
                                        ; implicit-def: $vgpr18
                                        ; implicit-def: $vgpr16
                                        ; implicit-def: $vgpr22
                                        ; implicit-def: $vgpr12
	s_waitcnt lgkmcnt(0)
	v_mul_lo_u32 v1, s6, v9
	v_mul_lo_u32 v6, s7, v8
	v_mad_u64_u32 v[4:5], s[0:1], s6, v8, v[2:3]
	v_add3_u32 v5, v6, v5, v1
	v_mul_hi_u32 v1, v0, s2
	v_mul_u32_u24_e32 v1, 0xd8, v1
	v_cmp_gt_u64_e64 s[0:1], s[10:11], v[8:9]
	v_sub_u32_e32 v2, v0, v1
	v_lshl_add_u64 v[0:1], v[4:5], 3, s[8:9]
                                        ; implicit-def: $vgpr4
                                        ; implicit-def: $vgpr6
                                        ; implicit-def: $vgpr8
	s_and_saveexec_b64 s[2:3], s[0:1]
	s_cbranch_execz .LBB0_11
; %bb.10:
	v_mov_b32_e32 v3, 0
	v_lshl_add_u64 v[22:23], v[2:3], 3, v[0:1]
	v_add_co_u32_e32 v30, vcc, 0x1000, v22
	global_load_dwordx2 v[14:15], v[22:23], off
	s_nop 0
	v_addc_co_u32_e32 v31, vcc, 0, v23, vcc
	v_add_co_u32_e32 v32, vcc, 0x3000, v22
	s_nop 1
	v_addc_co_u32_e32 v33, vcc, 0, v23, vcc
	v_add_co_u32_e32 v34, vcc, 0x2000, v22
	global_load_dwordx2 v[18:19], v[30:31], off offset:2816
	global_load_dwordx2 v[16:17], v[32:33], off offset:1536
	v_addc_co_u32_e32 v35, vcc, 0, v23, vcc
	global_load_dwordx2 v[26:27], v[34:35], off offset:2176
	v_add_co_u32_e32 v36, vcc, 0x4000, v22
	s_nop 1
	v_addc_co_u32_e32 v37, vcc, 0, v23, vcc
	global_load_dwordx2 v[10:11], v[30:31], off offset:1088
	global_load_dwordx2 v[24:25], v[22:23], off offset:3456
	;; [unrolled: 1-line block ×8, first 2 shown]
	s_waitcnt vmcnt(11)
	v_mov_b32_e32 v30, v15
	s_waitcnt vmcnt(5)
	v_mov_b32_e32 v22, v7
.LBB0_11:
	s_or_b64 exec, exec, s[2:3]
	v_pk_add_f32 v[32:33], v[18:19], v[16:17]
	v_pk_add_f32 v[34:35], v[18:19], v[16:17] neg_lo:[0,1] neg_hi:[0,1]
	v_mul_f32_e32 v52, 0.5, v32
	v_mul_f32_e32 v33, 0.5, v33
	v_mul_f32_e32 v31, 0x3f5db3d7, v34
	v_mov_b32_e32 v34, v19
	v_mov_b32_e32 v32, v19
	s_mov_b32 s6, 0x3f5db3d7
	v_pk_add_f32 v[36:37], v[26:27], v[24:25]
	s_waitcnt vmcnt(1)
	v_pk_add_f32 v[38:39], v[20:21], v[26:27]
	v_pk_add_f32 v[26:27], v[26:27], v[20:21] neg_lo:[0,1] neg_hi:[0,1]
	s_movk_i32 s7, 0xffec
	v_pk_add_f32 v[48:49], v[30:31], v[34:35] op_sel_hi:[0,1]
	v_pk_add_f32 v[32:33], v[30:31], v[32:33] op_sel_hi:[0,1] neg_lo:[0,1] neg_hi:[0,1]
	v_mov_b32_e32 v30, v17
	s_mov_b32 s2, 0xbf5db3d7
	v_pk_add_f32 v[48:49], v[48:49], v[30:31]
	v_pk_add_f32 v[50:51], v[32:33], v[30:31] neg_lo:[0,1] neg_hi:[0,1]
	v_mov_b32_e32 v30, v31
	v_mov_b32_e32 v31, v37
	;; [unrolled: 1-line block ×4, first 2 shown]
	v_pk_fma_f32 v[24:25], v[38:39], 0.5, v[24:25] op_sel_hi:[1,0,1] neg_lo:[1,0,0] neg_hi:[1,0,0]
	v_pk_mul_f32 v[26:27], v[26:27], s[6:7] op_sel_hi:[1,0]
	s_mov_b32 s3, 0.5
	v_mad_u32_u24 v56, v2, 24, 0
	v_pk_add_f32 v[30:31], v[30:31], v[32:33]
	v_pk_add_f32 v[32:33], v[24:25], v[26:27] op_sel:[0,1] op_sel_hi:[1,0] neg_lo:[0,1] neg_hi:[0,1]
	v_pk_add_f32 v[40:41], v[12:13], v[8:9]
	v_mad_i32_i24 v23, v2, s7, v56
	v_pk_add_f32 v[24:25], v[26:27], v[24:25] op_sel:[1,0] op_sel_hi:[0,1]
	v_mul_f32_e32 v26, -0.5, v32
	s_mov_b32 s7, s3
	v_mul_f32_e32 v15, 0.5, v41
	v_mul_f32_e32 v37, 0.5, v24
	v_fmac_f32_e32 v26, 0x3f5db3d7, v25
	v_pk_mul_f32 v[24:25], v[24:25], s[6:7]
	v_mov_b32_e32 v19, v52
	v_mul_f32_e32 v53, 0x3f5db3d7, v35
	v_mul_f32_e32 v21, 0x3f5db3d7, v33
	v_pk_fma_f32 v[24:25], v[32:33], s[2:3], v[24:25] op_sel:[0,0,1] op_sel_hi:[1,1,0] neg_lo:[0,0,1] neg_hi:[0,0,1]
	v_pk_add_f32 v[32:33], v[14:15], v[18:19]
	v_pk_add_f32 v[18:19], v[14:15], v[18:19] op_sel_hi:[0,1] neg_lo:[0,1] neg_hi:[0,1]
	v_mov_b32_e32 v33, v19
	v_mov_b32_e32 v17, v53
	v_pk_add_f32 v[16:17], v[32:33], v[16:17]
	v_fmac_f32_e32 v19, 0xbf5db3d7, v35
	v_pk_add_f32 v[20:21], v[20:21], v[36:37]
	v_mov_b32_e32 v34, v19
	v_mov_b32_e32 v35, v16
	;; [unrolled: 1-line block ×3, first 2 shown]
	s_waitcnt vmcnt(0)
	v_pk_add_f32 v[44:45], v[28:29], v[10:11]
	v_pk_add_f32 v[46:47], v[4:5], v[28:29]
	v_pk_add_f32 v[28:29], v[28:29], v[4:5] neg_lo:[0,1] neg_hi:[0,1]
	v_pk_add_f32 v[32:33], v[16:17], v[20:21]
	v_mov_b32_e32 v18, v17
	v_pk_add_f32 v[34:35], v[34:35], v[26:27]
	v_pk_add_f32 v[16:17], v[16:17], v[20:21] op_sel:[1,1] op_sel_hi:[0,0] neg_lo:[0,1] neg_hi:[0,1]
	v_mov_b32_e32 v35, v17
	v_pk_fma_f32 v[10:11], v[46:47], 0.5, v[10:11] op_sel_hi:[1,0,1] neg_lo:[1,0,0] neg_hi:[1,0,0]
	v_pk_mul_f32 v[28:29], v[28:29], s[6:7] op_sel_hi:[1,0]
	v_mov_b32_e32 v3, v48
	v_mov_b32_e32 v36, v21
	ds_write2_b64 v56, v[32:33], v[34:35] offset1:1
	v_mov_b32_e32 v37, v26
	v_pk_add_f32 v[34:35], v[10:11], v[28:29] op_sel:[0,1] op_sel_hi:[1,0] neg_lo:[0,1] neg_hi:[0,1]
	v_mul_f32_e32 v54, 0.5, v40
	v_pk_add_f32 v[42:43], v[12:13], v[8:9] neg_lo:[0,1] neg_hi:[0,1]
	v_pk_add_f32 v[16:17], v[18:19], v[36:37] neg_lo:[0,1] neg_hi:[0,1]
	;; [unrolled: 1-line block ×3, first 2 shown]
	v_mov_b32_e32 v14, v13
	v_pk_add_f32 v[10:11], v[28:29], v[10:11] op_sel:[1,0] op_sel_hi:[0,1]
	v_mul_f32_e32 v28, -0.5, v34
	v_mul_f32_e32 v41, 0x3f5db3d7, v42
	ds_write_b64 v56, v[16:17] offset:16
	v_mov_b32_e32 v16, v31
	v_pk_add_f32 v[18:19], v[24:25], v[30:31]
	v_mov_b32_e32 v31, v51
	v_mov_b32_e32 v20, v13
	v_pk_add_f32 v[14:15], v[22:23], v[14:15] op_sel_hi:[0,1] neg_lo:[0,1] neg_hi:[0,1]
	v_mov_b32_e32 v40, v9
	v_mov_b32_e32 v33, v45
	v_mul_f32_e32 v45, 0.5, v10
	v_fmac_f32_e32 v28, 0x3f5db3d7, v11
	v_pk_mul_f32 v[10:11], v[10:11], s[6:7]
	v_mov_b32_e32 v13, v54
	v_mul_f32_e32 v55, 0x3f5db3d7, v43
	v_mov_b32_e32 v17, v25
	v_pk_add_f32 v[24:25], v[30:31], v[24:25] neg_lo:[0,1] neg_hi:[0,1]
	v_pk_add_f32 v[30:31], v[14:15], v[40:41] neg_lo:[0,1] neg_hi:[0,1]
	v_mov_b32_e32 v14, v15
	v_mov_b32_e32 v15, v5
	v_mul_f32_e32 v5, 0x3f5db3d7, v35
	v_pk_fma_f32 v[34:35], v[34:35], s[2:3], v[10:11] op_sel:[0,0,1] op_sel_hi:[1,1,0] neg_lo:[0,0,1] neg_hi:[0,0,1]
	v_pk_add_f32 v[10:11], v[6:7], v[12:13]
	v_pk_add_f32 v[6:7], v[6:7], v[12:13] op_sel_hi:[0,1] neg_lo:[0,1] neg_hi:[0,1]
	v_mov_b32_e32 v11, v7
	v_mov_b32_e32 v9, v55
	v_pk_add_f32 v[8:9], v[10:11], v[8:9]
	v_fmac_f32_e32 v7, 0xbf5db3d7, v43
	v_pk_add_f32 v[4:5], v[4:5], v[44:45]
	v_mov_b32_e32 v12, v7
	v_mov_b32_e32 v13, v8
	;; [unrolled: 1-line block ×3, first 2 shown]
	v_pk_add_f32 v[10:11], v[8:9], v[4:5]
	v_mov_b32_e32 v36, v5
	v_pk_add_f32 v[12:13], v[12:13], v[28:29]
	v_pk_add_f32 v[4:5], v[8:9], v[4:5] op_sel:[1,1] op_sel_hi:[0,0] neg_lo:[0,1] neg_hi:[0,1]
	v_add_u32_e32 v57, 0x1440, v56
	v_mov_b32_e32 v49, v51
	v_pk_add_f32 v[26:27], v[22:23], v[20:21] op_sel_hi:[0,1]
	v_mov_b32_e32 v6, v9
	v_mov_b32_e32 v13, v5
	;; [unrolled: 1-line block ×3, first 2 shown]
	s_movk_i32 s2, 0xab
	v_pk_add_f32 v[16:17], v[48:49], v[16:17]
	v_pk_add_f32 v[26:27], v[26:27], v[40:41]
	v_mov_b32_e32 v32, v41
	ds_write2_b64 v57, v[10:11], v[12:13] offset1:1
	v_pk_add_f32 v[4:5], v[6:7], v[36:37] neg_lo:[0,1] neg_hi:[0,1]
	v_add_u32_e32 v3, 0x680, v23
	v_add_u32_e32 v13, 0xd00, v23
	;; [unrolled: 1-line block ×5, first 2 shown]
	v_mov_b32_e32 v19, v21
	v_mul_lo_u16_sdwa v8, v2, s2 dst_sel:DWORD dst_unused:UNUSED_PAD src0_sel:BYTE_0 src1_sel:DWORD
	v_pk_add_f32 v[14:15], v[32:33], v[14:15]
	v_mov_b32_e32 v33, v26
	ds_write_b64 v56, v[4:5] offset:5200
	s_waitcnt lgkmcnt(0)
	s_barrier
	ds_read2_b32 v[4:5], v23 offset1:216
	ds_read2_b32 v[6:7], v3 offset0:16 offset1:232
	ds_read2_b32 v[36:37], v13 offset0:32 offset1:248
	;; [unrolled: 1-line block ×3, first 2 shown]
	ds_read2_b32 v[40:41], v9 offset1:216
	ds_read2_b32 v[42:43], v11 offset0:16 offset1:232
	s_waitcnt lgkmcnt(0)
	s_barrier
	ds_write2_b64 v56, v[16:17], v[18:19] offset1:1
	v_mov_b32_e32 v16, v25
	v_mov_b32_e32 v17, v24
	v_lshrrev_b16_e32 v8, 10, v8
	v_mov_b32_e32 v27, v31
	ds_write_b64 v56, v[16:17] offset:16
	v_mov_b32_e32 v16, v15
	v_mov_b32_e32 v17, v35
	v_pk_add_f32 v[18:19], v[34:35], v[14:15]
	v_pk_add_f32 v[24:25], v[32:33], v[14:15] neg_lo:[0,1] neg_hi:[0,1]
	v_mov_b32_e32 v15, v31
	v_mul_lo_u16_e32 v10, 6, v8
	v_pk_add_f32 v[16:17], v[26:27], v[16:17]
	v_pk_add_f32 v[14:15], v[14:15], v[34:35] neg_lo:[0,1] neg_hi:[0,1]
	v_mov_b32_e32 v19, v25
	v_sub_u16_e32 v10, v2, v10
	v_mov_b32_e32 v12, 5
	ds_write2_b64 v57, v[16:17], v[18:19] offset1:1
	v_mov_b32_e32 v17, v14
	v_mul_u32_u24_sdwa v14, v10, v12 dst_sel:DWORD dst_unused:UNUSED_PAD src0_sel:BYTE_0 src1_sel:DWORD
	v_mov_b32_e32 v16, v15
	v_lshlrev_b32_e32 v18, 3, v14
	ds_write_b64 v56, v[16:17] offset:5200
	s_waitcnt lgkmcnt(0)
	s_barrier
	global_load_dwordx4 v[14:17], v18, s[4:5]
	global_load_dwordx4 v[24:27], v18, s[4:5] offset:16
	v_add_u32_e32 v21, 0xd8, v2
	s_mov_b32 s2, 0xaaab
	v_mul_u32_u24_sdwa v19, v21, s2 dst_sel:DWORD dst_unused:UNUSED_PAD src0_sel:WORD_0 src1_sel:DWORD
	v_lshrrev_b32_e32 v22, 18, v19
	v_mul_lo_u16_e32 v28, 6, v22
	global_load_dwordx2 v[18:19], v18, s[4:5] offset:32
	v_sub_u16_e32 v56, v21, v28
	v_mul_u32_u24_e32 v28, 5, v56
	v_lshlrev_b32_e32 v46, 3, v28
	global_load_dwordx4 v[28:31], v46, s[4:5]
	global_load_dwordx4 v[32:35], v46, s[4:5] offset:16
	global_load_dwordx2 v[44:45], v46, s[4:5] offset:32
	ds_read2_b32 v[46:47], v3 offset0:16 offset1:232
	ds_read2_b32 v[48:49], v13 offset0:32 offset1:248
	;; [unrolled: 1-line block ×3, first 2 shown]
	ds_read2_b32 v[52:53], v9 offset1:216
	ds_read2_b32 v[54:55], v11 offset0:16 offset1:232
	v_mul_u32_u24_e32 v8, 0x90, v8
	s_mov_b32 s2, 0xe38f
	s_waitcnt vmcnt(5) lgkmcnt(4)
	v_mul_f32_e32 v57, v46, v15
	v_fma_f32 v57, v6, v14, -v57
	v_mul_f32_e32 v6, v6, v15
	v_fmac_f32_e32 v6, v46, v14
	s_waitcnt lgkmcnt(3)
	v_mul_f32_e32 v14, v48, v17
	v_fma_f32 v46, v36, v16, -v14
	v_mul_f32_e32 v17, v36, v17
	s_waitcnt vmcnt(4) lgkmcnt(2)
	v_mul_f32_e32 v14, v50, v25
	v_fmac_f32_e32 v17, v48, v16
	v_fma_f32 v16, v38, v24, -v14
	v_mul_f32_e32 v25, v38, v25
	s_waitcnt lgkmcnt(1)
	v_mul_f32_e32 v14, v52, v27
	v_mul_f32_e32 v27, v40, v27
	v_fmac_f32_e32 v25, v50, v24
	v_fma_f32 v24, v40, v26, -v14
	v_fmac_f32_e32 v27, v52, v26
	s_waitcnt vmcnt(3) lgkmcnt(0)
	v_mul_f32_e32 v26, v54, v19
	v_mul_f32_e32 v19, v42, v19
	ds_read2_b32 v[14:15], v23 offset1:216
	v_fma_f32 v26, v42, v18, -v26
	v_fmac_f32_e32 v19, v54, v18
	s_waitcnt vmcnt(2)
	v_mul_f32_e32 v18, v47, v29
	v_fma_f32 v18, v7, v28, -v18
	v_mul_f32_e32 v7, v7, v29
	v_fmac_f32_e32 v7, v47, v28
	v_mul_f32_e32 v28, v49, v31
	v_fma_f32 v28, v37, v30, -v28
	v_mul_f32_e32 v29, v37, v31
	v_add_f32_e32 v37, v46, v24
	v_add_f32_e32 v36, v4, v46
	v_fma_f32 v4, -0.5, v37, v4
	v_sub_f32_e32 v37, v17, v27
	v_fmamk_f32 v38, v37, 0x3f5db3d7, v4
	v_fmac_f32_e32 v4, 0xbf5db3d7, v37
	s_waitcnt lgkmcnt(0)
	v_add_f32_e32 v37, v14, v17
	v_add_f32_e32 v17, v17, v27
	;; [unrolled: 1-line block ×3, first 2 shown]
	v_fma_f32 v14, -0.5, v17, v14
	v_sub_f32_e32 v17, v46, v24
	v_add_f32_e32 v27, v16, v26
	v_fmac_f32_e32 v29, v49, v30
	s_waitcnt vmcnt(1)
	v_mul_f32_e32 v30, v51, v33
	v_add_f32_e32 v36, v36, v24
	v_fmamk_f32 v24, v17, 0xbf5db3d7, v14
	v_fmac_f32_e32 v14, 0x3f5db3d7, v17
	v_add_f32_e32 v17, v57, v16
	v_fmac_f32_e32 v57, -0.5, v27
	v_sub_f32_e32 v27, v25, v19
	v_fma_f32 v30, v39, v32, -v30
	v_mul_f32_e32 v31, v39, v33
	v_fmamk_f32 v39, v27, 0x3f5db3d7, v57
	v_fmac_f32_e32 v57, 0xbf5db3d7, v27
	v_add_f32_e32 v27, v6, v25
	v_add_f32_e32 v27, v27, v19
	;; [unrolled: 1-line block ×3, first 2 shown]
	v_fmac_f32_e32 v6, -0.5, v19
	v_sub_f32_e32 v16, v16, v26
	v_fmamk_f32 v19, v16, 0xbf5db3d7, v6
	v_fmac_f32_e32 v31, v51, v32
	v_mul_f32_e32 v32, v53, v35
	v_fmac_f32_e32 v6, 0x3f5db3d7, v16
	v_mul_f32_e32 v25, 0x3f5db3d7, v19
	v_mul_f32_e32 v40, -0.5, v57
	v_fma_f32 v32, v41, v34, -v32
	v_mul_f32_e32 v33, v41, v35
	v_fmac_f32_e32 v25, 0.5, v39
	v_fmac_f32_e32 v40, 0x3f5db3d7, v6
	v_mul_f32_e32 v39, 0xbf5db3d7, v39
	v_mul_f32_e32 v6, -0.5, v6
	v_fmac_f32_e32 v33, v53, v34
	s_waitcnt vmcnt(0)
	v_mul_f32_e32 v34, v55, v45
	v_mul_f32_e32 v35, v43, v45
	v_add_f32_e32 v17, v17, v26
	v_add_f32_e32 v26, v38, v25
	;; [unrolled: 1-line block ×3, first 2 shown]
	v_fmac_f32_e32 v39, 0.5, v19
	v_fmac_f32_e32 v6, 0xbf5db3d7, v57
	v_sub_f32_e32 v19, v38, v25
	v_sub_f32_e32 v25, v37, v27
	v_add_f32_e32 v27, v28, v32
	v_fma_f32 v34, v43, v44, -v34
	v_fmac_f32_e32 v35, v55, v44
	v_add_f32_e32 v44, v14, v6
	v_sub_f32_e32 v6, v14, v6
	v_add_f32_e32 v14, v5, v28
	v_fmac_f32_e32 v5, -0.5, v27
	v_sub_f32_e32 v27, v29, v33
	v_add_f32_e32 v16, v36, v17
	v_sub_f32_e32 v17, v36, v17
	v_fmamk_f32 v36, v27, 0x3f5db3d7, v5
	v_fmac_f32_e32 v5, 0xbf5db3d7, v27
	v_add_f32_e32 v27, v15, v29
	v_add_f32_e32 v29, v29, v33
	;; [unrolled: 1-line block ×3, first 2 shown]
	v_fmac_f32_e32 v15, -0.5, v29
	v_sub_f32_e32 v28, v28, v32
	v_add_f32_e32 v32, v30, v34
	v_fmamk_f32 v29, v28, 0xbf5db3d7, v15
	v_fmac_f32_e32 v15, 0x3f5db3d7, v28
	v_add_f32_e32 v28, v18, v30
	v_fmac_f32_e32 v18, -0.5, v32
	v_sub_f32_e32 v32, v31, v35
	v_add_f32_e32 v27, v27, v33
	v_fmamk_f32 v33, v32, 0x3f5db3d7, v18
	v_fmac_f32_e32 v18, 0xbf5db3d7, v32
	v_add_f32_e32 v32, v7, v31
	v_add_f32_e32 v31, v31, v35
	v_fmac_f32_e32 v7, -0.5, v31
	v_sub_f32_e32 v30, v30, v34
	v_mov_b32_e32 v57, 2
	v_fmamk_f32 v31, v30, 0xbf5db3d7, v7
	v_lshlrev_b32_sdwa v10, v57, v10 dst_sel:DWORD dst_unused:UNUSED_PAD src0_sel:DWORD src1_sel:BYTE_0
	v_add_f32_e32 v41, v4, v40
	v_sub_f32_e32 v4, v4, v40
	v_add_f32_e32 v28, v28, v34
	v_fmac_f32_e32 v7, 0x3f5db3d7, v30
	v_mul_f32_e32 v34, 0x3f5db3d7, v31
	v_mul_f32_e32 v37, -0.5, v18
	v_add3_u32 v8, 0, v8, v10
	v_fmac_f32_e32 v34, 0.5, v33
	v_fmac_f32_e32 v37, 0x3f5db3d7, v7
	v_mul_f32_e32 v33, 0xbf5db3d7, v33
	v_mul_f32_e32 v7, -0.5, v7
	s_barrier
	ds_write2_b32 v8, v16, v26 offset1:6
	ds_write2_b32 v8, v41, v17 offset0:12 offset1:18
	ds_write2_b32 v8, v19, v4 offset0:24 offset1:30
	v_mul_u32_u24_e32 v4, 0x90, v22
	v_lshlrev_b32_e32 v10, 2, v56
	v_add_f32_e32 v43, v24, v39
	v_add_f32_e32 v32, v32, v35
	;; [unrolled: 1-line block ×5, first 2 shown]
	v_fmac_f32_e32 v33, 0.5, v31
	v_fmac_f32_e32 v7, 0xbf5db3d7, v18
	v_sub_f32_e32 v18, v36, v34
	v_add3_u32 v4, 0, v4, v10
	v_sub_f32_e32 v24, v24, v39
	v_add_f32_e32 v45, v27, v32
	v_add_f32_e32 v31, v29, v33
	;; [unrolled: 1-line block ×3, first 2 shown]
	v_sub_f32_e32 v14, v14, v28
	v_sub_f32_e32 v5, v5, v37
	;; [unrolled: 1-line block ×5, first 2 shown]
	ds_write2_b32 v4, v30, v35 offset1:6
	ds_write2_b32 v4, v38, v14 offset0:12 offset1:18
	ds_write2_b32 v4, v18, v5 offset0:24 offset1:30
	s_waitcnt lgkmcnt(0)
	s_barrier
	ds_read2_b32 v[18:19], v23 offset1:216
	ds_read2_b32 v[32:33], v3 offset0:16 offset1:232
	ds_read2_b32 v[34:35], v13 offset0:32 offset1:248
	;; [unrolled: 1-line block ×3, first 2 shown]
	ds_read2_b32 v[38:39], v9 offset1:216
	ds_read2_b32 v[40:41], v11 offset0:16 offset1:232
	s_waitcnt lgkmcnt(0)
	s_barrier
	ds_write2_b32 v8, v42, v43 offset1:6
	ds_write2_b32 v8, v44, v25 offset0:12 offset1:18
	ds_write2_b32 v8, v24, v6 offset0:24 offset1:30
	ds_write2_b32 v4, v45, v31 offset1:6
	ds_write2_b32 v4, v46, v27 offset0:12 offset1:18
	ds_write2_b32 v4, v28, v7 offset0:24 offset1:30
	v_mov_b32_e32 v4, 57
	v_mul_lo_u16_sdwa v4, v2, v4 dst_sel:DWORD dst_unused:UNUSED_PAD src0_sel:BYTE_0 src1_sel:DWORD
	v_lshrrev_b16_e32 v8, 11, v4
	v_mul_lo_u16_e32 v4, 36, v8
	v_sub_u16_e32 v10, v2, v4
	v_mul_u32_u24_sdwa v4, v10, v12 dst_sel:DWORD dst_unused:UNUSED_PAD src0_sel:BYTE_0 src1_sel:DWORD
	v_lshlrev_b32_e32 v12, 3, v4
	s_waitcnt lgkmcnt(0)
	s_barrier
	global_load_dwordx4 v[4:7], v12, s[4:5] offset:240
	global_load_dwordx4 v[14:17], v12, s[4:5] offset:256
	v_mul_u32_u24_sdwa v22, v21, s2 dst_sel:DWORD dst_unused:UNUSED_PAD src0_sel:WORD_0 src1_sel:DWORD
	v_lshrrev_b32_e32 v22, 21, v22
	v_mul_lo_u16_e32 v24, 36, v22
	global_load_dwordx2 v[42:43], v12, s[4:5] offset:272
	v_sub_u16_e32 v12, v21, v24
	v_mul_u32_u24_e32 v21, 5, v12
	v_lshlrev_b32_e32 v21, 3, v21
	global_load_dwordx4 v[24:27], v21, s[4:5] offset:240
	global_load_dwordx4 v[28:31], v21, s[4:5] offset:256
	global_load_dwordx2 v[44:45], v21, s[4:5] offset:272
	ds_read2_b32 v[46:47], v3 offset0:16 offset1:232
	ds_read2_b32 v[48:49], v13 offset0:32 offset1:248
	;; [unrolled: 1-line block ×3, first 2 shown]
	ds_read2_b32 v[52:53], v9 offset1:216
	ds_read2_b32 v[54:55], v11 offset0:16 offset1:232
	v_mul_u32_u24_e32 v8, 0x360, v8
	v_lshlrev_b32_sdwa v10, v57, v10 dst_sel:DWORD dst_unused:UNUSED_PAD src0_sel:DWORD src1_sel:BYTE_0
	v_add3_u32 v8, 0, v8, v10
	s_waitcnt vmcnt(5) lgkmcnt(4)
	v_mul_f32_e32 v21, v46, v5
	v_fma_f32 v21, v32, v4, -v21
	v_mul_f32_e32 v32, v32, v5
	v_fmac_f32_e32 v32, v46, v4
	s_waitcnt lgkmcnt(3)
	v_mul_f32_e32 v4, v48, v7
	v_fma_f32 v46, v34, v6, -v4
	v_mul_f32_e32 v7, v34, v7
	s_waitcnt vmcnt(4) lgkmcnt(2)
	v_mul_f32_e32 v4, v50, v15
	v_fmac_f32_e32 v7, v48, v6
	v_fma_f32 v6, v36, v14, -v4
	v_mul_f32_e32 v15, v36, v15
	s_waitcnt lgkmcnt(1)
	v_mul_f32_e32 v4, v52, v17
	v_fmac_f32_e32 v15, v50, v14
	v_fma_f32 v14, v38, v16, -v4
	ds_read2_b32 v[4:5], v23 offset1:216
	s_waitcnt vmcnt(2)
	v_mul_f32_e32 v36, v47, v25
	v_mul_f32_e32 v25, v33, v25
	v_fma_f32 v36, v33, v24, -v36
	v_fmac_f32_e32 v25, v47, v24
	v_mul_f32_e32 v24, v49, v27
	v_mul_f32_e32 v27, v35, v27
	;; [unrolled: 1-line block ×3, first 2 shown]
	v_fma_f32 v24, v35, v26, -v24
	v_fmac_f32_e32 v27, v49, v26
	s_waitcnt vmcnt(1)
	v_mul_f32_e32 v26, v51, v29
	v_fmac_f32_e32 v17, v52, v16
	v_fma_f32 v26, v37, v28, -v26
	v_mul_f32_e32 v29, v37, v29
	v_add_f32_e32 v37, v46, v14
	s_waitcnt lgkmcnt(1)
	v_mul_f32_e32 v16, v54, v43
	v_add_f32_e32 v35, v18, v46
	v_fma_f32 v18, -0.5, v37, v18
	v_sub_f32_e32 v37, v7, v17
	v_fma_f32 v16, v40, v42, -v16
	v_mul_f32_e32 v34, v40, v43
	v_fmamk_f32 v38, v37, 0x3f5db3d7, v18
	v_fmac_f32_e32 v18, 0xbf5db3d7, v37
	s_waitcnt lgkmcnt(0)
	v_add_f32_e32 v37, v4, v7
	v_add_f32_e32 v7, v7, v17
	v_fmac_f32_e32 v34, v54, v42
	v_add_f32_e32 v37, v37, v17
	v_fma_f32 v4, -0.5, v7, v4
	v_sub_f32_e32 v7, v46, v14
	v_add_f32_e32 v17, v6, v16
	v_fmac_f32_e32 v29, v51, v28
	v_mul_f32_e32 v28, v53, v31
	v_add_f32_e32 v35, v35, v14
	v_fmamk_f32 v14, v7, 0xbf5db3d7, v4
	v_fmac_f32_e32 v4, 0x3f5db3d7, v7
	v_add_f32_e32 v7, v21, v6
	v_fmac_f32_e32 v21, -0.5, v17
	v_sub_f32_e32 v17, v15, v34
	v_fma_f32 v28, v39, v30, -v28
	v_mul_f32_e32 v31, v39, v31
	v_fmamk_f32 v39, v17, 0x3f5db3d7, v21
	v_fmac_f32_e32 v21, 0xbf5db3d7, v17
	v_add_f32_e32 v17, v32, v15
	v_add_f32_e32 v15, v15, v34
	v_fmac_f32_e32 v32, -0.5, v15
	v_sub_f32_e32 v6, v6, v16
	v_fmamk_f32 v15, v6, 0xbf5db3d7, v32
	v_fmac_f32_e32 v32, 0x3f5db3d7, v6
	v_mul_f32_e32 v40, -0.5, v21
	v_add_f32_e32 v7, v7, v16
	v_fmac_f32_e32 v40, 0x3f5db3d7, v32
	v_mul_f32_e32 v32, -0.5, v32
	v_fmac_f32_e32 v31, v53, v30
	v_add_f32_e32 v6, v35, v7
	v_fmac_f32_e32 v32, 0xbf5db3d7, v21
	v_sub_f32_e32 v7, v35, v7
	v_add_f32_e32 v35, v24, v28
	s_waitcnt vmcnt(0)
	v_mul_f32_e32 v30, v55, v45
	v_add_f32_e32 v17, v17, v34
	v_add_f32_e32 v21, v4, v32
	v_sub_f32_e32 v4, v4, v32
	v_add_f32_e32 v32, v19, v24
	v_fmac_f32_e32 v19, -0.5, v35
	v_sub_f32_e32 v35, v27, v31
	v_fma_f32 v30, v41, v44, -v30
	v_mul_f32_e32 v33, v41, v45
	v_add_f32_e32 v42, v37, v17
	v_sub_f32_e32 v17, v37, v17
	v_fmamk_f32 v37, v35, 0x3f5db3d7, v19
	v_fmac_f32_e32 v19, 0xbf5db3d7, v35
	v_add_f32_e32 v35, v5, v27
	v_add_f32_e32 v27, v27, v31
	v_fmac_f32_e32 v33, v55, v44
	v_add_f32_e32 v32, v32, v28
	v_fmac_f32_e32 v5, -0.5, v27
	v_sub_f32_e32 v24, v24, v28
	v_add_f32_e32 v28, v26, v30
	v_fmamk_f32 v27, v24, 0xbf5db3d7, v5
	v_fmac_f32_e32 v5, 0x3f5db3d7, v24
	v_add_f32_e32 v24, v36, v26
	v_fmac_f32_e32 v36, -0.5, v28
	v_sub_f32_e32 v28, v29, v33
	v_add_f32_e32 v35, v35, v31
	v_fmamk_f32 v31, v28, 0x3f5db3d7, v36
	v_fmac_f32_e32 v36, 0xbf5db3d7, v28
	v_add_f32_e32 v28, v25, v29
	v_add_f32_e32 v29, v29, v33
	v_mul_f32_e32 v16, 0x3f5db3d7, v15
	v_fmac_f32_e32 v25, -0.5, v29
	v_sub_f32_e32 v26, v26, v30
	v_fmac_f32_e32 v16, 0.5, v39
	v_fmamk_f32 v29, v26, 0xbf5db3d7, v25
	v_add_f32_e32 v34, v38, v16
	v_mul_f32_e32 v39, 0xbf5db3d7, v39
	v_sub_f32_e32 v16, v38, v16
	v_add_f32_e32 v24, v24, v30
	v_fmac_f32_e32 v25, 0x3f5db3d7, v26
	v_mul_f32_e32 v30, 0x3f5db3d7, v29
	v_mul_f32_e32 v38, -0.5, v36
	v_add_f32_e32 v41, v18, v40
	v_fmac_f32_e32 v39, 0.5, v15
	v_sub_f32_e32 v18, v18, v40
	v_fmac_f32_e32 v30, 0.5, v31
	v_fmac_f32_e32 v38, 0x3f5db3d7, v25
	v_mul_f32_e32 v31, 0xbf5db3d7, v31
	v_mul_f32_e32 v25, -0.5, v25
	s_barrier
	ds_write2_b32 v8, v6, v34 offset1:36
	ds_write2_b32 v8, v41, v7 offset0:72 offset1:108
	ds_write2_b32 v8, v16, v18 offset0:144 offset1:180
	v_mul_u32_u24_e32 v6, 0x360, v22
	v_lshlrev_b32_e32 v7, 2, v12
	v_add_f32_e32 v15, v14, v39
	v_sub_f32_e32 v14, v14, v39
	v_add_f32_e32 v28, v28, v33
	v_add_f32_e32 v26, v32, v24
	;; [unrolled: 1-line block ×4, first 2 shown]
	v_fmac_f32_e32 v31, 0.5, v29
	v_fmac_f32_e32 v25, 0xbf5db3d7, v36
	v_sub_f32_e32 v24, v32, v24
	v_sub_f32_e32 v29, v37, v30
	;; [unrolled: 1-line block ×3, first 2 shown]
	v_add3_u32 v6, 0, v6, v7
	v_add_f32_e32 v40, v35, v28
	v_add_f32_e32 v43, v27, v31
	;; [unrolled: 1-line block ×3, first 2 shown]
	v_sub_f32_e32 v35, v35, v28
	v_sub_f32_e32 v37, v27, v31
	;; [unrolled: 1-line block ×3, first 2 shown]
	ds_write2_b32 v6, v26, v33 offset1:36
	ds_write2_b32 v6, v39, v24 offset0:72 offset1:108
	ds_write2_b32 v6, v29, v19 offset0:144 offset1:180
	s_waitcnt lgkmcnt(0)
	s_barrier
	ds_read2_b32 v[18:19], v23 offset1:216
	ds_read2_b32 v[24:25], v3 offset0:16 offset1:232
	ds_read2_b32 v[26:27], v13 offset0:32 offset1:248
	;; [unrolled: 1-line block ×3, first 2 shown]
	ds_read2_b32 v[30:31], v9 offset1:216
	ds_read2_b32 v[32:33], v11 offset0:16 offset1:232
	s_waitcnt lgkmcnt(0)
	s_barrier
	ds_write2_b32 v8, v42, v15 offset1:36
	ds_write2_b32 v8, v21, v17 offset0:72 offset1:108
	ds_write2_b32 v8, v14, v4 offset0:144 offset1:180
	ds_write2_b32 v6, v40, v43 offset1:36
	ds_write2_b32 v6, v36, v35 offset0:72 offset1:108
	ds_write2_b32 v6, v37, v5 offset0:144 offset1:180
	v_mul_u32_u24_e32 v4, 5, v2
	v_lshlrev_b32_e32 v8, 3, v4
	s_waitcnt lgkmcnt(0)
	s_barrier
	global_load_dwordx4 v[4:7], v8, s[4:5] offset:1680
	global_load_dwordx4 v[14:17], v8, s[4:5] offset:1696
	global_load_dwordx2 v[34:35], v8, s[4:5] offset:1712
	ds_read2_b32 v[36:37], v23 offset1:216
	ds_read2_b32 v[38:39], v3 offset0:16 offset1:232
	ds_read2_b32 v[40:41], v13 offset0:32 offset1:248
	;; [unrolled: 1-line block ×3, first 2 shown]
	ds_read2_b32 v[44:45], v9 offset1:216
	ds_read2_b32 v[46:47], v11 offset0:16 offset1:232
	s_waitcnt lgkmcnt(0)
	s_barrier
	s_waitcnt vmcnt(2)
	v_mul_f32_e32 v10, v24, v5
	v_mul_f32_e32 v8, v38, v5
	v_fmac_f32_e32 v10, v38, v4
	v_mul_f32_e32 v12, v40, v7
	v_mul_f32_e32 v38, v39, v5
	;; [unrolled: 1-line block ×3, first 2 shown]
	v_fma_f32 v8, v24, v4, -v8
	v_fma_f32 v12, v26, v6, -v12
	v_mul_f32_e32 v21, v26, v7
	s_waitcnt vmcnt(1)
	v_mul_f32_e32 v22, v42, v15
	v_mul_f32_e32 v26, v44, v17
	v_fma_f32 v38, v25, v4, -v38
	v_fmac_f32_e32 v5, v39, v4
	v_mul_f32_e32 v4, v41, v7
	v_mul_f32_e32 v7, v27, v7
	v_fmac_f32_e32 v21, v40, v6
	v_fma_f32 v22, v28, v14, -v22
	v_mul_f32_e32 v24, v28, v15
	v_fma_f32 v26, v30, v16, -v26
	v_mul_f32_e32 v28, v30, v17
	v_fma_f32 v4, v27, v6, -v4
	v_fmac_f32_e32 v7, v41, v6
	v_mul_f32_e32 v6, v43, v15
	v_fmac_f32_e32 v28, v44, v16
	v_fma_f32 v6, v29, v14, -v6
	v_mul_f32_e32 v15, v29, v15
	v_add_f32_e32 v29, v12, v26
	v_fmac_f32_e32 v24, v42, v14
	s_waitcnt vmcnt(0)
	v_mul_f32_e32 v30, v46, v35
	v_fmac_f32_e32 v15, v43, v14
	v_mul_f32_e32 v14, v45, v17
	v_add_f32_e32 v27, v18, v12
	v_fma_f32 v18, -0.5, v29, v18
	v_sub_f32_e32 v29, v21, v28
	v_fma_f32 v30, v32, v34, -v30
	v_mul_f32_e32 v32, v32, v35
	v_fma_f32 v14, v31, v16, -v14
	v_mul_f32_e32 v17, v31, v17
	v_fmamk_f32 v31, v29, 0x3f5db3d7, v18
	v_fmac_f32_e32 v18, 0xbf5db3d7, v29
	v_add_f32_e32 v29, v36, v21
	v_add_f32_e32 v21, v21, v28
	v_fmac_f32_e32 v32, v46, v34
	v_add_f32_e32 v29, v29, v28
	v_fma_f32 v21, -0.5, v21, v36
	v_sub_f32_e32 v12, v12, v26
	v_add_f32_e32 v28, v22, v30
	v_fmac_f32_e32 v17, v45, v16
	v_mul_f32_e32 v16, v47, v35
	v_add_f32_e32 v27, v27, v26
	v_fmamk_f32 v26, v12, 0xbf5db3d7, v21
	v_fmac_f32_e32 v21, 0x3f5db3d7, v12
	v_add_f32_e32 v12, v8, v22
	v_fmac_f32_e32 v8, -0.5, v28
	v_sub_f32_e32 v28, v24, v32
	v_fma_f32 v16, v33, v34, -v16
	v_mul_f32_e32 v25, v33, v35
	v_fmamk_f32 v33, v28, 0x3f5db3d7, v8
	v_fmac_f32_e32 v8, 0xbf5db3d7, v28
	v_add_f32_e32 v28, v10, v24
	v_add_f32_e32 v24, v24, v32
	v_fmac_f32_e32 v10, -0.5, v24
	v_sub_f32_e32 v22, v22, v30
	v_fmac_f32_e32 v25, v47, v34
	v_fmamk_f32 v24, v22, 0xbf5db3d7, v10
	v_fmac_f32_e32 v10, 0x3f5db3d7, v22
	v_mul_f32_e32 v34, -0.5, v8
	v_fmac_f32_e32 v34, 0x3f5db3d7, v10
	v_mul_f32_e32 v10, -0.5, v10
	v_add_f32_e32 v12, v12, v30
	v_add_f32_e32 v28, v28, v32
	v_fmac_f32_e32 v10, 0xbf5db3d7, v8
	v_add_f32_e32 v22, v27, v12
	v_add_f32_e32 v36, v29, v28
	;; [unrolled: 1-line block ×3, first 2 shown]
	v_sub_f32_e32 v8, v27, v12
	v_sub_f32_e32 v27, v29, v28
	;; [unrolled: 1-line block ×3, first 2 shown]
	v_add_f32_e32 v21, v4, v14
	v_add_f32_e32 v10, v19, v4
	v_fmac_f32_e32 v19, -0.5, v21
	v_sub_f32_e32 v21, v7, v17
	v_fmamk_f32 v29, v21, 0x3f5db3d7, v19
	v_fmac_f32_e32 v19, 0xbf5db3d7, v21
	v_add_f32_e32 v21, v37, v7
	v_add_f32_e32 v7, v7, v17
	;; [unrolled: 1-line block ×3, first 2 shown]
	v_fmac_f32_e32 v37, -0.5, v7
	v_sub_f32_e32 v4, v4, v14
	v_add_f32_e32 v14, v6, v16
	v_fmamk_f32 v7, v4, 0xbf5db3d7, v37
	v_fmac_f32_e32 v37, 0x3f5db3d7, v4
	v_add_f32_e32 v4, v38, v6
	v_fmac_f32_e32 v38, -0.5, v14
	v_sub_f32_e32 v14, v15, v25
	v_add_f32_e32 v21, v21, v17
	v_fmamk_f32 v17, v14, 0x3f5db3d7, v38
	v_fmac_f32_e32 v38, 0xbf5db3d7, v14
	v_add_f32_e32 v14, v5, v15
	v_add_f32_e32 v15, v15, v25
	v_mul_f32_e32 v30, 0x3f5db3d7, v24
	v_fmac_f32_e32 v5, -0.5, v15
	v_sub_f32_e32 v6, v6, v16
	v_fmac_f32_e32 v30, 0.5, v33
	v_fmamk_f32 v15, v6, 0xbf5db3d7, v5
	v_add_f32_e32 v32, v31, v30
	v_mul_f32_e32 v33, 0xbf5db3d7, v33
	v_sub_f32_e32 v12, v31, v30
	v_add_f32_e32 v4, v4, v16
	v_fmac_f32_e32 v5, 0x3f5db3d7, v6
	v_mul_f32_e32 v16, 0x3f5db3d7, v15
	v_mul_f32_e32 v30, -0.5, v38
	v_fmac_f32_e32 v33, 0.5, v24
	v_add_f32_e32 v14, v14, v25
	v_fmac_f32_e32 v16, 0.5, v17
	v_fmac_f32_e32 v30, 0x3f5db3d7, v5
	v_mul_f32_e32 v17, 0xbf5db3d7, v17
	v_add_f32_e32 v35, v18, v34
	v_add_f32_e32 v24, v26, v33
	v_sub_f32_e32 v18, v18, v34
	v_sub_f32_e32 v26, v26, v33
	v_add_f32_e32 v6, v10, v4
	v_add_f32_e32 v25, v29, v16
	;; [unrolled: 1-line block ×3, first 2 shown]
	v_fmac_f32_e32 v17, 0.5, v15
	v_sub_f32_e32 v4, v10, v4
	v_sub_f32_e32 v10, v29, v16
	;; [unrolled: 1-line block ×4, first 2 shown]
	v_lshl_add_u32 v21, v2, 2, 0
	v_add_f32_e32 v31, v19, v30
	v_add_f32_e32 v34, v7, v17
	v_sub_f32_e32 v30, v7, v17
	ds_write2_b32 v23, v22, v32 offset1:216
	ds_write2_b32 v3, v35, v8 offset0:16 offset1:232
	ds_write2_b32 v13, v12, v18 offset0:32 offset1:248
	;; [unrolled: 1-line block ×3, first 2 shown]
	ds_write2_b32 v9, v31, v4 offset1:216
	ds_write2_b32 v11, v10, v15 offset0:16 offset1:232
	s_waitcnt lgkmcnt(0)
	s_barrier
	ds_read2_b32 v[18:19], v23 offset1:216
	ds_read2_b32 v[16:17], v20 offset0:16 offset1:232
	ds_read_b32 v10, v23 offset:1728
	ds_read2_b32 v[14:15], v9 offset1:216
	ds_read_b32 v4, v21 offset:4320
	ds_read_b32 v12, v21 offset:2592
	;; [unrolled: 1-line block ×3, first 2 shown]
	ds_read2_b32 v[6:7], v11 offset0:16 offset1:232
	v_mul_f32_e32 v5, -0.5, v5
	v_fmac_f32_e32 v5, 0xbf5db3d7, v38
	v_add_f32_e32 v38, v37, v5
	v_sub_f32_e32 v5, v37, v5
	s_waitcnt lgkmcnt(0)
	s_barrier
	ds_write2_b32 v23, v36, v24 offset1:216
	ds_write2_b32 v3, v39, v27 offset0:16 offset1:232
	ds_write2_b32 v13, v26, v28 offset0:32 offset1:248
	;; [unrolled: 1-line block ×3, first 2 shown]
	ds_write2_b32 v9, v38, v29 offset1:216
	ds_write2_b32 v11, v30, v5 offset0:16 offset1:232
	s_waitcnt lgkmcnt(0)
	s_barrier
	s_and_saveexec_b64 s[2:3], s[0:1]
	s_cbranch_execz .LBB0_13
; %bb.12:
	v_mov_b32_e32 v27, 0
	v_mov_b32_e32 v3, v27
	v_lshlrev_b64 v[28:29], 3, v[2:3]
	v_lshl_add_u64 v[30:31], s[4:5], 0, v[28:29]
	s_movk_i32 s0, 0x2000
	v_add_co_u32_e32 v32, vcc, s0, v30
	s_movk_i32 s1, 0x3000
	s_nop 0
	v_addc_co_u32_e32 v33, vcc, 0, v31, vcc
	v_add_u32_e32 v24, 0x288, v2
	v_mov_b32_e32 v25, v27
	global_load_dwordx2 v[34:35], v[32:33], off offset:2128
	v_add_co_u32_e32 v30, vcc, s1, v30
	v_lshl_add_u64 v[24:25], v[24:25], 3, s[4:5]
	s_nop 0
	v_addc_co_u32_e32 v31, vcc, 0, v31, vcc
	v_add_co_u32_e32 v24, vcc, s0, v24
	v_add_u32_e32 v26, 0x438, v2
	s_nop 0
	v_addc_co_u32_e32 v25, vcc, 0, v25, vcc
	global_load_dwordx2 v[36:37], v[32:33], off offset:3856
	global_load_dwordx2 v[38:39], v[30:31], off offset:1488
	global_load_dwordx2 v[40:41], v[24:25], off offset:2128
	v_add_u32_e32 v24, 0x360, v2
	v_mov_b32_e32 v25, v27
	v_lshl_add_u64 v[30:31], v[24:25], 3, s[4:5]
	v_add_co_u32_e32 v30, vcc, s0, v30
	v_lshl_add_u64 v[44:45], v[26:27], 3, s[4:5]
	s_nop 0
	v_addc_co_u32_e32 v31, vcc, 0, v31, vcc
	global_load_dwordx2 v[30:31], v[30:31], off offset:2128
	v_add_co_u32_e32 v44, vcc, s0, v44
	ds_read2_b32 v[2:3], v11 offset0:16 offset1:232
	ds_read_b32 v5, v21 offset:4320
	ds_read_b32 v13, v21 offset:2592
	ds_read2_b32 v[32:33], v9 offset1:216
	ds_read_b32 v9, v23 offset:3456
	ds_read_b32 v11, v23 offset:1728
	ds_read2_b32 v[22:23], v23 offset1:216
	ds_read2_b32 v[20:21], v20 offset0:16 offset1:232
	v_addc_co_u32_e32 v45, vcc, 0, v45, vcc
	global_load_dwordx2 v[44:45], v[44:45], off offset:2128
	v_mov_b32_e32 v42, v18
	s_waitcnt lgkmcnt(0)
	v_mov_b32_e32 v56, v21
	v_mov_b32_e32 v18, v17
	;; [unrolled: 1-line block ×3, first 2 shown]
	v_lshl_add_u64 v[28:29], v[0:1], 0, v[28:29]
	v_mov_b32_e32 v48, v15
	v_mov_b32_e32 v50, v15
	v_add_co_u32_e32 v52, vcc, s0, v28
	v_mov_b32_e32 v43, v22
	v_mov_b32_e32 v22, v19
	v_addc_co_u32_e32 v53, vcc, 0, v29, vcc
	v_add_co_u32_e32 v54, vcc, s1, v28
	s_movk_i32 s1, 0x1000
	s_nop 0
	v_addc_co_u32_e32 v55, vcc, 0, v29, vcc
	s_movk_i32 s2, 0x510
	s_waitcnt vmcnt(5)
	v_pk_mul_f32 v[20:21], v[20:21], v[34:35] op_sel:[0,1] op_sel_hi:[0,0]
	v_pk_fma_f32 v[58:59], v[16:17], v[34:35], v[20:21] neg_lo:[0,0,1] neg_hi:[0,0,1]
	v_pk_fma_f32 v[16:17], v[16:17], v[34:35], v[20:21] op_sel_hi:[0,1,1]
	v_mov_b32_e32 v16, v33
	v_mov_b32_e32 v59, v17
	s_waitcnt vmcnt(4)
	v_pk_mul_f32 v[20:21], v[56:57], v[36:37] op_sel:[0,1] op_sel_hi:[0,0]
	s_waitcnt vmcnt(3)
	v_pk_mul_f32 v[32:33], v[32:33], v[38:39] op_sel:[0,1] op_sel_hi:[0,0]
	v_pk_fma_f32 v[18:19], v[18:19], v[36:37], v[20:21] neg_lo:[0,0,1] neg_hi:[0,0,1]
	v_pk_fma_f32 v[20:21], v[46:47], v[36:37], v[20:21] op_sel_hi:[0,1,1]
	v_pk_fma_f32 v[36:37], v[14:15], v[38:39], v[32:33] neg_lo:[0,0,1] neg_hi:[0,0,1]
	v_pk_fma_f32 v[14:15], v[14:15], v[38:39], v[32:33] op_sel_hi:[0,1,1]
	v_mov_b32_e32 v19, v21
	v_mov_b32_e32 v37, v15
	s_waitcnt vmcnt(2)
	v_pk_mul_f32 v[34:35], v[16:17], v[40:41] op_sel:[0,1] op_sel_hi:[0,0]
	v_pk_add_f32 v[14:15], v[42:43], v[58:59] neg_lo:[0,1] neg_hi:[0,1]
	v_pk_add_f32 v[16:17], v[22:23], v[18:19] neg_lo:[0,1] neg_hi:[0,1]
	;; [unrolled: 1-line block ×3, first 2 shown]
	v_pk_fma_f32 v[20:21], v[42:43], 2.0, v[14:15] op_sel_hi:[1,0,1] neg_lo:[0,0,1] neg_hi:[0,0,1]
	global_store_dwordx2 v[52:53], v[14:15], off offset:2176
	v_pk_fma_f32 v[14:15], v[22:23], 2.0, v[16:17] op_sel_hi:[1,0,1] neg_lo:[0,0,1] neg_hi:[0,0,1]
	v_pk_fma_f32 v[10:11], v[10:11], 2.0, v[18:19] op_sel_hi:[1,0,1] neg_lo:[0,0,1] neg_hi:[0,0,1]
	global_store_dwordx2 v[52:53], v[16:17], off offset:3904
	global_store_dwordx2 v[54:55], v[18:19], off offset:1536
	global_store_dwordx2 v[28:29], v[20:21], off
	global_store_dwordx2 v[28:29], v[14:15], off offset:1728
	global_store_dwordx2 v[28:29], v[10:11], off offset:3456
	v_pk_fma_f32 v[10:11], v[48:49], v[40:41], v[34:35] neg_lo:[0,0,1] neg_hi:[0,0,1]
	v_pk_fma_f32 v[14:15], v[50:51], v[40:41], v[34:35] op_sel_hi:[0,1,1]
	v_mov_b32_e32 v11, v15
	v_pk_add_f32 v[10:11], v[12:13], v[10:11] neg_lo:[0,1] neg_hi:[0,1]
	v_add_co_u32_e32 v14, vcc, s1, v28
	v_pk_fma_f32 v[12:13], v[12:13], 2.0, v[10:11] op_sel_hi:[1,0,1] neg_lo:[0,0,1] neg_hi:[0,0,1]
	s_nop 0
	v_addc_co_u32_e32 v15, vcc, 0, v29, vcc
	global_store_dwordx2 v[14:15], v[12:13], off offset:1088
	global_store_dwordx2 v[54:55], v[10:11], off offset:3264
	s_mov_b32 s1, 0xca4587e7
	s_waitcnt vmcnt(9)
	v_pk_mul_f32 v[12:13], v[2:3], v[30:31] op_sel:[0,1] op_sel_hi:[0,0]
	v_mul_hi_u32 v10, v24, s1
	v_pk_fma_f32 v[14:15], v[6:7], v[30:31], v[12:13] neg_lo:[0,0,1] neg_hi:[0,0,1]
	v_pk_fma_f32 v[12:13], v[6:7], v[30:31], v[12:13] op_sel_hi:[0,1,1]
	v_lshrrev_b32_e32 v10, 10, v10
	v_mov_b32_e32 v15, v13
	v_mad_u32_u24 v10, v10, s2, v24
	v_mov_b32_e32 v11, v27
	v_pk_add_f32 v[12:13], v[8:9], v[14:15] neg_lo:[0,1] neg_hi:[0,1]
	v_lshl_add_u64 v[10:11], v[10:11], 3, v[0:1]
	v_pk_fma_f32 v[8:9], v[8:9], 2.0, v[12:13] op_sel_hi:[1,0,1] neg_lo:[0,0,1] neg_hi:[0,0,1]
	global_store_dwordx2 v[10:11], v[8:9], off
	v_add_co_u32_e32 v8, vcc, s0, v10
	v_mul_hi_u32 v2, v26, s1
	s_nop 0
	v_addc_co_u32_e32 v9, vcc, 0, v11, vcc
	global_store_dwordx2 v[8:9], v[12:13], off offset:2176
	v_lshrrev_b32_e32 v2, 10, v2
	v_mov_b32_e32 v8, v3
	v_mad_u32_u24 v26, v2, s2, v26
	v_mov_b32_e32 v2, v7
	v_mov_b32_e32 v6, v7
	s_waitcnt vmcnt(10)
	v_pk_mul_f32 v[8:9], v[8:9], v[44:45] op_sel:[0,1] op_sel_hi:[0,0]
	v_pk_fma_f32 v[2:3], v[2:3], v[44:45], v[8:9] neg_lo:[0,0,1] neg_hi:[0,0,1]
	v_pk_fma_f32 v[6:7], v[6:7], v[44:45], v[8:9] op_sel_hi:[0,1,1]
	v_mov_b32_e32 v3, v7
	v_pk_add_f32 v[2:3], v[4:5], v[2:3] neg_lo:[0,1] neg_hi:[0,1]
	v_lshl_add_u64 v[0:1], v[26:27], 3, v[0:1]
	v_pk_fma_f32 v[4:5], v[4:5], 2.0, v[2:3] op_sel_hi:[1,0,1] neg_lo:[0,0,1] neg_hi:[0,0,1]
	global_store_dwordx2 v[0:1], v[4:5], off
	v_add_co_u32_e32 v0, vcc, 0x2000, v0
	s_nop 1
	v_addc_co_u32_e32 v1, vcc, 0, v1, vcc
	global_store_dwordx2 v[0:1], v[2:3], off offset:2176
.LBB0_13:
	s_endpgm
	.section	.rodata,"a",@progbits
	.p2align	6, 0x0
	.amdhsa_kernel fft_rtc_fwd_len2592_factors_6_6_6_6_2_wgs_216_tpt_216_halfLds_sp_ip_CI_unitstride_sbrr_dirReg
		.amdhsa_group_segment_fixed_size 0
		.amdhsa_private_segment_fixed_size 0
		.amdhsa_kernarg_size 88
		.amdhsa_user_sgpr_count 2
		.amdhsa_user_sgpr_dispatch_ptr 0
		.amdhsa_user_sgpr_queue_ptr 0
		.amdhsa_user_sgpr_kernarg_segment_ptr 1
		.amdhsa_user_sgpr_dispatch_id 0
		.amdhsa_user_sgpr_kernarg_preload_length 0
		.amdhsa_user_sgpr_kernarg_preload_offset 0
		.amdhsa_user_sgpr_private_segment_size 0
		.amdhsa_uses_dynamic_stack 0
		.amdhsa_enable_private_segment 0
		.amdhsa_system_sgpr_workgroup_id_x 1
		.amdhsa_system_sgpr_workgroup_id_y 0
		.amdhsa_system_sgpr_workgroup_id_z 0
		.amdhsa_system_sgpr_workgroup_info 0
		.amdhsa_system_vgpr_workitem_id 0
		.amdhsa_next_free_vgpr 60
		.amdhsa_next_free_sgpr 22
		.amdhsa_accum_offset 60
		.amdhsa_reserve_vcc 1
		.amdhsa_float_round_mode_32 0
		.amdhsa_float_round_mode_16_64 0
		.amdhsa_float_denorm_mode_32 3
		.amdhsa_float_denorm_mode_16_64 3
		.amdhsa_dx10_clamp 1
		.amdhsa_ieee_mode 1
		.amdhsa_fp16_overflow 0
		.amdhsa_tg_split 0
		.amdhsa_exception_fp_ieee_invalid_op 0
		.amdhsa_exception_fp_denorm_src 0
		.amdhsa_exception_fp_ieee_div_zero 0
		.amdhsa_exception_fp_ieee_overflow 0
		.amdhsa_exception_fp_ieee_underflow 0
		.amdhsa_exception_fp_ieee_inexact 0
		.amdhsa_exception_int_div_zero 0
	.end_amdhsa_kernel
	.text
.Lfunc_end0:
	.size	fft_rtc_fwd_len2592_factors_6_6_6_6_2_wgs_216_tpt_216_halfLds_sp_ip_CI_unitstride_sbrr_dirReg, .Lfunc_end0-fft_rtc_fwd_len2592_factors_6_6_6_6_2_wgs_216_tpt_216_halfLds_sp_ip_CI_unitstride_sbrr_dirReg
                                        ; -- End function
	.section	.AMDGPU.csdata,"",@progbits
; Kernel info:
; codeLenInByte = 6448
; NumSgprs: 28
; NumVgprs: 60
; NumAgprs: 0
; TotalNumVgprs: 60
; ScratchSize: 0
; MemoryBound: 0
; FloatMode: 240
; IeeeMode: 1
; LDSByteSize: 0 bytes/workgroup (compile time only)
; SGPRBlocks: 3
; VGPRBlocks: 7
; NumSGPRsForWavesPerEU: 28
; NumVGPRsForWavesPerEU: 60
; AccumOffset: 60
; Occupancy: 8
; WaveLimiterHint : 1
; COMPUTE_PGM_RSRC2:SCRATCH_EN: 0
; COMPUTE_PGM_RSRC2:USER_SGPR: 2
; COMPUTE_PGM_RSRC2:TRAP_HANDLER: 0
; COMPUTE_PGM_RSRC2:TGID_X_EN: 1
; COMPUTE_PGM_RSRC2:TGID_Y_EN: 0
; COMPUTE_PGM_RSRC2:TGID_Z_EN: 0
; COMPUTE_PGM_RSRC2:TIDIG_COMP_CNT: 0
; COMPUTE_PGM_RSRC3_GFX90A:ACCUM_OFFSET: 14
; COMPUTE_PGM_RSRC3_GFX90A:TG_SPLIT: 0
	.text
	.p2alignl 6, 3212836864
	.fill 256, 4, 3212836864
	.type	__hip_cuid_a12546b05de501bf,@object ; @__hip_cuid_a12546b05de501bf
	.section	.bss,"aw",@nobits
	.globl	__hip_cuid_a12546b05de501bf
__hip_cuid_a12546b05de501bf:
	.byte	0                               ; 0x0
	.size	__hip_cuid_a12546b05de501bf, 1

	.ident	"AMD clang version 19.0.0git (https://github.com/RadeonOpenCompute/llvm-project roc-6.4.0 25133 c7fe45cf4b819c5991fe208aaa96edf142730f1d)"
	.section	".note.GNU-stack","",@progbits
	.addrsig
	.addrsig_sym __hip_cuid_a12546b05de501bf
	.amdgpu_metadata
---
amdhsa.kernels:
  - .agpr_count:     0
    .args:
      - .actual_access:  read_only
        .address_space:  global
        .offset:         0
        .size:           8
        .value_kind:     global_buffer
      - .offset:         8
        .size:           8
        .value_kind:     by_value
      - .actual_access:  read_only
        .address_space:  global
        .offset:         16
        .size:           8
        .value_kind:     global_buffer
      - .actual_access:  read_only
        .address_space:  global
        .offset:         24
        .size:           8
        .value_kind:     global_buffer
      - .offset:         32
        .size:           8
        .value_kind:     by_value
      - .actual_access:  read_only
        .address_space:  global
        .offset:         40
        .size:           8
        .value_kind:     global_buffer
      - .actual_access:  read_only
        .address_space:  global
        .offset:         48
        .size:           8
        .value_kind:     global_buffer
      - .offset:         56
        .size:           4
        .value_kind:     by_value
      - .actual_access:  read_only
        .address_space:  global
        .offset:         64
        .size:           8
        .value_kind:     global_buffer
      - .actual_access:  read_only
        .address_space:  global
        .offset:         72
        .size:           8
        .value_kind:     global_buffer
      - .address_space:  global
        .offset:         80
        .size:           8
        .value_kind:     global_buffer
    .group_segment_fixed_size: 0
    .kernarg_segment_align: 8
    .kernarg_segment_size: 88
    .language:       OpenCL C
    .language_version:
      - 2
      - 0
    .max_flat_workgroup_size: 216
    .name:           fft_rtc_fwd_len2592_factors_6_6_6_6_2_wgs_216_tpt_216_halfLds_sp_ip_CI_unitstride_sbrr_dirReg
    .private_segment_fixed_size: 0
    .sgpr_count:     28
    .sgpr_spill_count: 0
    .symbol:         fft_rtc_fwd_len2592_factors_6_6_6_6_2_wgs_216_tpt_216_halfLds_sp_ip_CI_unitstride_sbrr_dirReg.kd
    .uniform_work_group_size: 1
    .uses_dynamic_stack: false
    .vgpr_count:     60
    .vgpr_spill_count: 0
    .wavefront_size: 64
amdhsa.target:   amdgcn-amd-amdhsa--gfx950
amdhsa.version:
  - 1
  - 2
...

	.end_amdgpu_metadata
